;; amdgpu-corpus repo=ROCm/rocFFT kind=compiled arch=gfx1100 opt=O3
	.text
	.amdgcn_target "amdgcn-amd-amdhsa--gfx1100"
	.amdhsa_code_object_version 6
	.protected	fft_rtc_fwd_len1540_factors_11_2_7_5_2_wgs_154_tpt_154_halfLds_dp_ip_CI_unitstride_sbrr_R2C_dirReg ; -- Begin function fft_rtc_fwd_len1540_factors_11_2_7_5_2_wgs_154_tpt_154_halfLds_dp_ip_CI_unitstride_sbrr_R2C_dirReg
	.globl	fft_rtc_fwd_len1540_factors_11_2_7_5_2_wgs_154_tpt_154_halfLds_dp_ip_CI_unitstride_sbrr_R2C_dirReg
	.p2align	8
	.type	fft_rtc_fwd_len1540_factors_11_2_7_5_2_wgs_154_tpt_154_halfLds_dp_ip_CI_unitstride_sbrr_R2C_dirReg,@function
fft_rtc_fwd_len1540_factors_11_2_7_5_2_wgs_154_tpt_154_halfLds_dp_ip_CI_unitstride_sbrr_R2C_dirReg: ; @fft_rtc_fwd_len1540_factors_11_2_7_5_2_wgs_154_tpt_154_halfLds_dp_ip_CI_unitstride_sbrr_R2C_dirReg
; %bb.0:
	s_clause 0x2
	s_load_b128 s[4:7], s[0:1], 0x0
	s_load_b64 s[8:9], s[0:1], 0x50
	s_load_b64 s[10:11], s[0:1], 0x18
	v_mul_u32_u24_e32 v1, 0x1aa, v0
	v_mov_b32_e32 v3, 0
	v_mov_b32_e32 v4, 0
	s_delay_alu instid0(VALU_DEP_3) | instskip(SKIP_1) | instid1(VALU_DEP_1)
	v_lshrrev_b32_e32 v2, 16, v1
	v_mov_b32_e32 v1, 0
	v_dual_mov_b32 v6, v1 :: v_dual_add_nc_u32 v5, s15, v2
	s_waitcnt lgkmcnt(0)
	v_cmp_lt_u64_e64 s2, s[6:7], 2
	s_delay_alu instid0(VALU_DEP_1)
	s_and_b32 vcc_lo, exec_lo, s2
	s_cbranch_vccnz .LBB0_8
; %bb.1:
	s_load_b64 s[2:3], s[0:1], 0x10
	v_mov_b32_e32 v3, 0
	s_add_u32 s12, s10, 8
	v_mov_b32_e32 v4, 0
	s_addc_u32 s13, s11, 0
	s_mov_b64 s[16:17], 1
	s_waitcnt lgkmcnt(0)
	s_add_u32 s14, s2, 8
	s_addc_u32 s15, s3, 0
.LBB0_2:                                ; =>This Inner Loop Header: Depth=1
	s_load_b64 s[18:19], s[14:15], 0x0
                                        ; implicit-def: $vgpr7_vgpr8
	s_mov_b32 s2, exec_lo
	s_waitcnt lgkmcnt(0)
	v_or_b32_e32 v2, s19, v6
	s_delay_alu instid0(VALU_DEP_1)
	v_cmpx_ne_u64_e32 0, v[1:2]
	s_xor_b32 s3, exec_lo, s2
	s_cbranch_execz .LBB0_4
; %bb.3:                                ;   in Loop: Header=BB0_2 Depth=1
	v_cvt_f32_u32_e32 v2, s18
	v_cvt_f32_u32_e32 v7, s19
	s_sub_u32 s2, 0, s18
	s_subb_u32 s20, 0, s19
	s_delay_alu instid0(VALU_DEP_1) | instskip(NEXT) | instid1(VALU_DEP_1)
	v_fmac_f32_e32 v2, 0x4f800000, v7
	v_rcp_f32_e32 v2, v2
	s_waitcnt_depctr 0xfff
	v_mul_f32_e32 v2, 0x5f7ffffc, v2
	s_delay_alu instid0(VALU_DEP_1) | instskip(NEXT) | instid1(VALU_DEP_1)
	v_mul_f32_e32 v7, 0x2f800000, v2
	v_trunc_f32_e32 v7, v7
	s_delay_alu instid0(VALU_DEP_1) | instskip(SKIP_1) | instid1(VALU_DEP_2)
	v_fmac_f32_e32 v2, 0xcf800000, v7
	v_cvt_u32_f32_e32 v7, v7
	v_cvt_u32_f32_e32 v2, v2
	s_delay_alu instid0(VALU_DEP_2) | instskip(NEXT) | instid1(VALU_DEP_2)
	v_mul_lo_u32 v8, s2, v7
	v_mul_hi_u32 v9, s2, v2
	v_mul_lo_u32 v10, s20, v2
	s_delay_alu instid0(VALU_DEP_2) | instskip(SKIP_1) | instid1(VALU_DEP_2)
	v_add_nc_u32_e32 v8, v9, v8
	v_mul_lo_u32 v9, s2, v2
	v_add_nc_u32_e32 v8, v8, v10
	s_delay_alu instid0(VALU_DEP_2) | instskip(NEXT) | instid1(VALU_DEP_2)
	v_mul_hi_u32 v10, v2, v9
	v_mul_lo_u32 v11, v2, v8
	v_mul_hi_u32 v12, v2, v8
	v_mul_hi_u32 v13, v7, v9
	v_mul_lo_u32 v9, v7, v9
	v_mul_hi_u32 v14, v7, v8
	v_mul_lo_u32 v8, v7, v8
	v_add_co_u32 v10, vcc_lo, v10, v11
	v_add_co_ci_u32_e32 v11, vcc_lo, 0, v12, vcc_lo
	s_delay_alu instid0(VALU_DEP_2) | instskip(NEXT) | instid1(VALU_DEP_2)
	v_add_co_u32 v9, vcc_lo, v10, v9
	v_add_co_ci_u32_e32 v9, vcc_lo, v11, v13, vcc_lo
	v_add_co_ci_u32_e32 v10, vcc_lo, 0, v14, vcc_lo
	s_delay_alu instid0(VALU_DEP_2) | instskip(NEXT) | instid1(VALU_DEP_2)
	v_add_co_u32 v8, vcc_lo, v9, v8
	v_add_co_ci_u32_e32 v9, vcc_lo, 0, v10, vcc_lo
	s_delay_alu instid0(VALU_DEP_2) | instskip(NEXT) | instid1(VALU_DEP_2)
	v_add_co_u32 v2, vcc_lo, v2, v8
	v_add_co_ci_u32_e32 v7, vcc_lo, v7, v9, vcc_lo
	s_delay_alu instid0(VALU_DEP_2) | instskip(SKIP_1) | instid1(VALU_DEP_3)
	v_mul_hi_u32 v8, s2, v2
	v_mul_lo_u32 v10, s20, v2
	v_mul_lo_u32 v9, s2, v7
	s_delay_alu instid0(VALU_DEP_1) | instskip(SKIP_1) | instid1(VALU_DEP_2)
	v_add_nc_u32_e32 v8, v8, v9
	v_mul_lo_u32 v9, s2, v2
	v_add_nc_u32_e32 v8, v8, v10
	s_delay_alu instid0(VALU_DEP_2) | instskip(NEXT) | instid1(VALU_DEP_2)
	v_mul_hi_u32 v10, v2, v9
	v_mul_lo_u32 v11, v2, v8
	v_mul_hi_u32 v12, v2, v8
	v_mul_hi_u32 v13, v7, v9
	v_mul_lo_u32 v9, v7, v9
	v_mul_hi_u32 v14, v7, v8
	v_mul_lo_u32 v8, v7, v8
	v_add_co_u32 v10, vcc_lo, v10, v11
	v_add_co_ci_u32_e32 v11, vcc_lo, 0, v12, vcc_lo
	s_delay_alu instid0(VALU_DEP_2) | instskip(NEXT) | instid1(VALU_DEP_2)
	v_add_co_u32 v9, vcc_lo, v10, v9
	v_add_co_ci_u32_e32 v9, vcc_lo, v11, v13, vcc_lo
	v_add_co_ci_u32_e32 v10, vcc_lo, 0, v14, vcc_lo
	s_delay_alu instid0(VALU_DEP_2) | instskip(NEXT) | instid1(VALU_DEP_2)
	v_add_co_u32 v8, vcc_lo, v9, v8
	v_add_co_ci_u32_e32 v9, vcc_lo, 0, v10, vcc_lo
	s_delay_alu instid0(VALU_DEP_2) | instskip(NEXT) | instid1(VALU_DEP_2)
	v_add_co_u32 v2, vcc_lo, v2, v8
	v_add_co_ci_u32_e32 v13, vcc_lo, v7, v9, vcc_lo
	s_delay_alu instid0(VALU_DEP_2) | instskip(SKIP_1) | instid1(VALU_DEP_3)
	v_mul_hi_u32 v14, v5, v2
	v_mad_u64_u32 v[9:10], null, v6, v2, 0
	v_mad_u64_u32 v[7:8], null, v5, v13, 0
	;; [unrolled: 1-line block ×3, first 2 shown]
	s_delay_alu instid0(VALU_DEP_2) | instskip(NEXT) | instid1(VALU_DEP_3)
	v_add_co_u32 v2, vcc_lo, v14, v7
	v_add_co_ci_u32_e32 v7, vcc_lo, 0, v8, vcc_lo
	s_delay_alu instid0(VALU_DEP_2) | instskip(NEXT) | instid1(VALU_DEP_2)
	v_add_co_u32 v2, vcc_lo, v2, v9
	v_add_co_ci_u32_e32 v2, vcc_lo, v7, v10, vcc_lo
	v_add_co_ci_u32_e32 v7, vcc_lo, 0, v12, vcc_lo
	s_delay_alu instid0(VALU_DEP_2) | instskip(NEXT) | instid1(VALU_DEP_2)
	v_add_co_u32 v2, vcc_lo, v2, v11
	v_add_co_ci_u32_e32 v9, vcc_lo, 0, v7, vcc_lo
	s_delay_alu instid0(VALU_DEP_2) | instskip(SKIP_1) | instid1(VALU_DEP_3)
	v_mul_lo_u32 v10, s19, v2
	v_mad_u64_u32 v[7:8], null, s18, v2, 0
	v_mul_lo_u32 v11, s18, v9
	s_delay_alu instid0(VALU_DEP_2) | instskip(NEXT) | instid1(VALU_DEP_2)
	v_sub_co_u32 v7, vcc_lo, v5, v7
	v_add3_u32 v8, v8, v11, v10
	s_delay_alu instid0(VALU_DEP_1) | instskip(NEXT) | instid1(VALU_DEP_1)
	v_sub_nc_u32_e32 v10, v6, v8
	v_subrev_co_ci_u32_e64 v10, s2, s19, v10, vcc_lo
	v_add_co_u32 v11, s2, v2, 2
	s_delay_alu instid0(VALU_DEP_1) | instskip(SKIP_3) | instid1(VALU_DEP_3)
	v_add_co_ci_u32_e64 v12, s2, 0, v9, s2
	v_sub_co_u32 v13, s2, v7, s18
	v_sub_co_ci_u32_e32 v8, vcc_lo, v6, v8, vcc_lo
	v_subrev_co_ci_u32_e64 v10, s2, 0, v10, s2
	v_cmp_le_u32_e32 vcc_lo, s18, v13
	s_delay_alu instid0(VALU_DEP_3) | instskip(SKIP_1) | instid1(VALU_DEP_4)
	v_cmp_eq_u32_e64 s2, s19, v8
	v_cndmask_b32_e64 v13, 0, -1, vcc_lo
	v_cmp_le_u32_e32 vcc_lo, s19, v10
	v_cndmask_b32_e64 v14, 0, -1, vcc_lo
	v_cmp_le_u32_e32 vcc_lo, s18, v7
	;; [unrolled: 2-line block ×3, first 2 shown]
	v_cndmask_b32_e64 v15, 0, -1, vcc_lo
	v_cmp_eq_u32_e32 vcc_lo, s19, v10
	s_delay_alu instid0(VALU_DEP_2) | instskip(SKIP_3) | instid1(VALU_DEP_3)
	v_cndmask_b32_e64 v7, v15, v7, s2
	v_cndmask_b32_e32 v10, v14, v13, vcc_lo
	v_add_co_u32 v13, vcc_lo, v2, 1
	v_add_co_ci_u32_e32 v14, vcc_lo, 0, v9, vcc_lo
	v_cmp_ne_u32_e32 vcc_lo, 0, v10
	s_delay_alu instid0(VALU_DEP_2) | instskip(NEXT) | instid1(VALU_DEP_4)
	v_cndmask_b32_e32 v8, v14, v12, vcc_lo
	v_cndmask_b32_e32 v10, v13, v11, vcc_lo
	v_cmp_ne_u32_e32 vcc_lo, 0, v7
	s_delay_alu instid0(VALU_DEP_2)
	v_dual_cndmask_b32 v7, v2, v10 :: v_dual_cndmask_b32 v8, v9, v8
.LBB0_4:                                ;   in Loop: Header=BB0_2 Depth=1
	s_and_not1_saveexec_b32 s2, s3
	s_cbranch_execz .LBB0_6
; %bb.5:                                ;   in Loop: Header=BB0_2 Depth=1
	v_cvt_f32_u32_e32 v2, s18
	s_sub_i32 s3, 0, s18
	s_delay_alu instid0(VALU_DEP_1) | instskip(SKIP_2) | instid1(VALU_DEP_1)
	v_rcp_iflag_f32_e32 v2, v2
	s_waitcnt_depctr 0xfff
	v_mul_f32_e32 v2, 0x4f7ffffe, v2
	v_cvt_u32_f32_e32 v2, v2
	s_delay_alu instid0(VALU_DEP_1) | instskip(NEXT) | instid1(VALU_DEP_1)
	v_mul_lo_u32 v7, s3, v2
	v_mul_hi_u32 v7, v2, v7
	s_delay_alu instid0(VALU_DEP_1) | instskip(NEXT) | instid1(VALU_DEP_1)
	v_add_nc_u32_e32 v2, v2, v7
	v_mul_hi_u32 v2, v5, v2
	s_delay_alu instid0(VALU_DEP_1) | instskip(SKIP_1) | instid1(VALU_DEP_2)
	v_mul_lo_u32 v7, v2, s18
	v_add_nc_u32_e32 v8, 1, v2
	v_sub_nc_u32_e32 v7, v5, v7
	s_delay_alu instid0(VALU_DEP_1) | instskip(SKIP_1) | instid1(VALU_DEP_2)
	v_subrev_nc_u32_e32 v9, s18, v7
	v_cmp_le_u32_e32 vcc_lo, s18, v7
	v_dual_cndmask_b32 v7, v7, v9 :: v_dual_cndmask_b32 v2, v2, v8
	s_delay_alu instid0(VALU_DEP_1) | instskip(NEXT) | instid1(VALU_DEP_2)
	v_cmp_le_u32_e32 vcc_lo, s18, v7
	v_add_nc_u32_e32 v8, 1, v2
	s_delay_alu instid0(VALU_DEP_1)
	v_dual_cndmask_b32 v7, v2, v8 :: v_dual_mov_b32 v8, v1
.LBB0_6:                                ;   in Loop: Header=BB0_2 Depth=1
	s_or_b32 exec_lo, exec_lo, s2
	s_load_b64 s[2:3], s[12:13], 0x0
	s_delay_alu instid0(VALU_DEP_1) | instskip(NEXT) | instid1(VALU_DEP_2)
	v_mul_lo_u32 v2, v8, s18
	v_mul_lo_u32 v11, v7, s19
	v_mad_u64_u32 v[9:10], null, v7, s18, 0
	s_add_u32 s16, s16, 1
	s_addc_u32 s17, s17, 0
	s_add_u32 s12, s12, 8
	s_addc_u32 s13, s13, 0
	;; [unrolled: 2-line block ×3, first 2 shown]
	s_delay_alu instid0(VALU_DEP_1) | instskip(SKIP_1) | instid1(VALU_DEP_2)
	v_add3_u32 v2, v10, v11, v2
	v_sub_co_u32 v9, vcc_lo, v5, v9
	v_sub_co_ci_u32_e32 v2, vcc_lo, v6, v2, vcc_lo
	s_waitcnt lgkmcnt(0)
	s_delay_alu instid0(VALU_DEP_2) | instskip(NEXT) | instid1(VALU_DEP_2)
	v_mul_lo_u32 v10, s3, v9
	v_mul_lo_u32 v2, s2, v2
	v_mad_u64_u32 v[5:6], null, s2, v9, v[3:4]
	v_cmp_ge_u64_e64 s2, s[16:17], s[6:7]
	s_delay_alu instid0(VALU_DEP_1) | instskip(NEXT) | instid1(VALU_DEP_2)
	s_and_b32 vcc_lo, exec_lo, s2
	v_add3_u32 v4, v10, v6, v2
	s_delay_alu instid0(VALU_DEP_3)
	v_mov_b32_e32 v3, v5
	s_cbranch_vccnz .LBB0_9
; %bb.7:                                ;   in Loop: Header=BB0_2 Depth=1
	v_dual_mov_b32 v5, v7 :: v_dual_mov_b32 v6, v8
	s_branch .LBB0_2
.LBB0_8:
	v_dual_mov_b32 v8, v6 :: v_dual_mov_b32 v7, v5
.LBB0_9:
	s_lshl_b64 s[2:3], s[6:7], 3
	v_mul_hi_u32 v5, 0x1a98ef7, v0
	s_add_u32 s2, s10, s2
	s_addc_u32 s3, s11, s3
	s_load_b64 s[2:3], s[2:3], 0x0
	s_load_b64 s[0:1], s[0:1], 0x20
	s_waitcnt lgkmcnt(0)
	v_mul_lo_u32 v6, s2, v8
	v_mul_lo_u32 v9, s3, v7
	v_mad_u64_u32 v[1:2], null, s2, v7, v[3:4]
	v_mul_u32_u24_e32 v3, 0x9a, v5
	v_cmp_gt_u64_e32 vcc_lo, s[0:1], v[7:8]
	s_delay_alu instid0(VALU_DEP_2) | instskip(NEXT) | instid1(VALU_DEP_4)
	v_sub_nc_u32_e32 v56, v0, v3
	v_add3_u32 v2, v9, v2, v6
	s_delay_alu instid0(VALU_DEP_2) | instskip(NEXT) | instid1(VALU_DEP_2)
	v_lshl_add_u32 v112, v56, 4, 0
	v_lshlrev_b64 v[58:59], 4, v[1:2]
	s_and_saveexec_b32 s1, vcc_lo
	s_cbranch_execz .LBB0_11
; %bb.10:
	v_mov_b32_e32 v57, 0
	s_delay_alu instid0(VALU_DEP_2) | instskip(NEXT) | instid1(VALU_DEP_1)
	v_add_co_u32 v2, s0, s8, v58
	v_add_co_ci_u32_e64 v3, s0, s9, v59, s0
	s_delay_alu instid0(VALU_DEP_3) | instskip(NEXT) | instid1(VALU_DEP_1)
	v_lshlrev_b64 v[0:1], 4, v[56:57]
	v_add_co_u32 v16, s0, v2, v0
	s_delay_alu instid0(VALU_DEP_1) | instskip(SKIP_4) | instid1(VALU_DEP_1)
	v_add_co_ci_u32_e64 v17, s0, v3, v1, s0
	s_clause 0x1
	global_load_b128 v[0:3], v[16:17], off
	global_load_b128 v[4:7], v[16:17], off offset:2464
	v_add_co_u32 v12, s0, 0x1000, v16
	v_add_co_ci_u32_e64 v13, s0, 0, v17, s0
	v_add_co_u32 v18, s0, 0x2000, v16
	s_delay_alu instid0(VALU_DEP_1) | instskip(SKIP_1) | instid1(VALU_DEP_1)
	v_add_co_ci_u32_e64 v19, s0, 0, v17, s0
	v_add_co_u32 v24, s0, 0x3000, v16
	v_add_co_ci_u32_e64 v25, s0, 0, v17, s0
	v_add_co_u32 v32, s0, 0x4000, v16
	s_delay_alu instid0(VALU_DEP_1) | instskip(SKIP_1) | instid1(VALU_DEP_1)
	v_add_co_ci_u32_e64 v33, s0, 0, v17, s0
	v_add_co_u32 v36, s0, 0x5000, v16
	v_add_co_ci_u32_e64 v37, s0, 0, v17, s0
	s_clause 0x7
	global_load_b128 v[8:11], v[12:13], off offset:832
	global_load_b128 v[12:15], v[12:13], off offset:3296
	;; [unrolled: 1-line block ×8, first 2 shown]
	s_waitcnt vmcnt(9)
	ds_store_b128 v112, v[0:3]
	s_waitcnt vmcnt(8)
	ds_store_b128 v112, v[4:7] offset:2464
	s_waitcnt vmcnt(7)
	ds_store_b128 v112, v[8:11] offset:4928
	;; [unrolled: 2-line block ×9, first 2 shown]
.LBB0_11:
	s_or_b32 exec_lo, exec_lo, s1
	s_waitcnt lgkmcnt(0)
	s_barrier
	buffer_gl0_inv
	ds_load_b128 v[4:7], v112 offset:22400
	ds_load_b128 v[36:39], v112 offset:2240
	ds_load_b128 v[20:23], v112
	ds_load_b128 v[8:11], v112 offset:20160
	ds_load_b128 v[44:47], v112 offset:4480
	;; [unrolled: 1-line block ×3, first 2 shown]
	s_mov_b32 s6, 0xf8bb580b
	s_mov_b32 s7, 0xbfe14ced
	ds_load_b128 v[12:15], v112 offset:17920
	s_mov_b32 s2, 0x8764f0ba
	s_mov_b32 s10, 0x8eee2c13
	;; [unrolled: 1-line block ×4, first 2 shown]
	ds_load_b128 v[16:19], v112 offset:15680
	ds_load_b128 v[32:35], v112 offset:8960
	s_mov_b32 s12, 0xd9c712b6
	s_mov_b32 s14, 0x43842ef
	;; [unrolled: 1-line block ×4, first 2 shown]
	ds_load_b128 v[28:31], v112 offset:11200
	ds_load_b128 v[24:27], v112 offset:13440
	s_mov_b32 s16, 0x640f44db
	s_mov_b32 s18, 0xbb3a28a1
	;; [unrolled: 1-line block ×4, first 2 shown]
	s_waitcnt lgkmcnt(9)
	v_add_f64 v[108:109], v[38:39], -v[6:7]
	v_add_f64 v[86:87], v[36:37], -v[4:5]
	v_add_f64 v[90:91], v[36:37], v[4:5]
	s_waitcnt lgkmcnt(6)
	v_add_f64 v[98:99], v[46:47], -v[10:11]
	v_add_f64 v[110:111], v[38:39], v[6:7]
	v_add_f64 v[80:81], v[44:45], -v[8:9]
	v_add_f64 v[70:71], v[44:45], v[8:9]
	s_waitcnt lgkmcnt(4)
	v_add_f64 v[74:75], v[42:43], -v[14:15]
	v_add_f64 v[104:105], v[46:47], v[10:11]
	v_add_f64 v[96:97], v[40:41], -v[12:13]
	v_add_f64 v[84:85], v[40:41], v[12:13]
	v_add_f64 v[106:107], v[42:43], v[14:15]
	s_waitcnt lgkmcnt(2)
	v_add_f64 v[72:73], v[34:35], -v[18:19]
	v_add_f64 v[62:63], v[32:33], -v[16:17]
	v_add_f64 v[60:61], v[32:33], v[16:17]
	v_add_f64 v[88:89], v[34:35], v[18:19]
	s_waitcnt lgkmcnt(0)
	v_add_f64 v[66:67], v[30:31], -v[26:27]
	v_add_f64 v[50:51], v[28:29], -v[24:25]
	s_mov_b32 s20, 0x7f775887
	s_mov_b32 s22, 0xfd768dbf
	;; [unrolled: 1-line block ×4, first 2 shown]
	v_add_f64 v[82:83], v[30:31], v[26:27]
	s_mov_b32 s24, 0x9bcd5057
	s_mov_b32 s25, 0xbfeeb42a
	s_mov_b32 s33, exec_lo
	s_barrier
	buffer_gl0_inv
	v_mul_f64 v[92:93], v[108:109], s[6:7]
	v_mul_f64 v[94:95], v[86:87], s[6:7]
	;; [unrolled: 1-line block ×9, first 2 shown]
	v_fma_f64 v[0:1], v[90:91], s[2:3], v[92:93]
	v_fma_f64 v[2:3], v[110:111], s[2:3], -v[94:95]
	v_fma_f64 v[48:49], v[70:71], s[12:13], v[76:77]
	v_fma_f64 v[52:53], v[104:105], s[12:13], -v[78:79]
	;; [unrolled: 2-line block ×4, first 2 shown]
	v_add_f64 v[0:1], v[20:21], v[0:1]
	v_add_f64 v[2:3], v[22:23], v[2:3]
	s_delay_alu instid0(VALU_DEP_2) | instskip(NEXT) | instid1(VALU_DEP_2)
	v_add_f64 v[0:1], v[48:49], v[0:1]
	v_add_f64 v[2:3], v[52:53], v[2:3]
	;; [unrolled: 1-line block ×3, first 2 shown]
	v_mul_f64 v[52:53], v[66:67], s[22:23]
	s_delay_alu instid0(VALU_DEP_4) | instskip(NEXT) | instid1(VALU_DEP_4)
	v_add_f64 v[0:1], v[113:114], v[0:1]
	v_add_f64 v[2:3], v[115:116], v[2:3]
	v_fma_f64 v[115:116], v[82:83], s[24:25], -v[54:55]
	s_delay_alu instid0(VALU_DEP_4) | instskip(NEXT) | instid1(VALU_DEP_4)
	v_fma_f64 v[113:114], v[48:49], s[24:25], v[52:53]
	v_add_f64 v[0:1], v[117:118], v[0:1]
	s_delay_alu instid0(VALU_DEP_4) | instskip(NEXT) | instid1(VALU_DEP_2)
	v_add_f64 v[2:3], v[119:120], v[2:3]
	v_add_f64 v[0:1], v[113:114], v[0:1]
	s_delay_alu instid0(VALU_DEP_2)
	v_add_f64 v[2:3], v[115:116], v[2:3]
	v_cmpx_gt_u32_e32 0x8c, v56
	s_cbranch_execz .LBB0_13
; %bb.12:
	v_add_f64 v[38:39], v[22:23], v[38:39]
	v_add_f64 v[36:37], v[20:21], v[36:37]
	v_mul_f64 v[113:114], v[110:111], s[16:17]
	v_mul_f64 v[115:116], v[108:109], s[14:15]
	;; [unrolled: 1-line block ×4, first 2 shown]
	s_mov_b32 s27, 0x3fefac9e
	s_mov_b32 s26, s14
	;; [unrolled: 1-line block ×10, first 2 shown]
	v_mul_f64 v[121:122], v[106:107], s[20:21]
	v_mul_f64 v[123:124], v[106:107], s[2:3]
	;; [unrolled: 1-line block ×15, first 2 shown]
	v_add_f64 v[38:39], v[38:39], v[46:47]
	v_add_f64 v[36:37], v[36:37], v[44:45]
	v_mul_f64 v[44:45], v[110:111], s[20:21]
	v_mul_f64 v[46:47], v[108:109], s[18:19]
	v_fma_f64 v[155:156], v[86:87], s[26:27], v[113:114]
	v_fma_f64 v[157:158], v[90:91], s[16:17], v[115:116]
	;; [unrolled: 1-line block ×3, first 2 shown]
	v_fma_f64 v[115:116], v[90:91], s[16:17], -v[115:116]
	v_fma_f64 v[159:160], v[86:87], s[28:29], v[117:118]
	v_add_f64 v[92:93], v[119:120], -v[92:93]
	v_fma_f64 v[119:120], v[96:97], s[6:7], v[123:124]
	v_fma_f64 v[163:164], v[80:81], s[14:15], v[131:132]
	;; [unrolled: 1-line block ×3, first 2 shown]
	v_add_f64 v[78:79], v[78:79], v[104:105]
	v_add_f64 v[100:101], v[137:138], -v[100:101]
	v_add_f64 v[76:77], v[139:140], -v[76:77]
	v_fma_f64 v[137:138], v[70:71], s[2:3], v[143:144]
	v_fma_f64 v[139:140], v[70:71], s[2:3], -v[143:144]
	v_fma_f64 v[143:144], v[70:71], s[16:17], v[145:146]
	v_fma_f64 v[145:146], v[70:71], s[16:17], -v[145:146]
	v_add_f64 v[102:103], v[102:103], v[106:107]
	v_mul_f64 v[106:107], v[88:89], s[12:13]
	v_add_f64 v[38:39], v[38:39], v[42:43]
	v_add_f64 v[36:37], v[36:37], v[40:41]
	v_mul_f64 v[40:41], v[110:111], s[24:25]
	v_mul_f64 v[42:43], v[108:109], s[22:23]
	;; [unrolled: 1-line block ×4, first 2 shown]
	v_fma_f64 v[151:152], v[86:87], s[0:1], v[44:45]
	v_fma_f64 v[153:154], v[90:91], s[20:21], v[46:47]
	;; [unrolled: 1-line block ×3, first 2 shown]
	v_fma_f64 v[46:47], v[90:91], s[20:21], -v[46:47]
	v_add_f64 v[157:158], v[20:21], v[157:158]
	v_add_f64 v[115:116], v[20:21], v[115:116]
	;; [unrolled: 1-line block ×7, first 2 shown]
	v_mul_f64 v[36:37], v[98:99], s[18:19]
	v_fma_f64 v[147:148], v[86:87], s[30:31], v[40:41]
	v_fma_f64 v[149:150], v[90:91], s[24:25], v[42:43]
	;; [unrolled: 1-line block ×3, first 2 shown]
	v_fma_f64 v[42:43], v[90:91], s[24:25], -v[42:43]
	v_fma_f64 v[161:162], v[90:91], s[12:13], v[108:109]
	v_fma_f64 v[86:87], v[86:87], s[10:11], v[117:118]
	v_fma_f64 v[90:91], v[90:91], s[12:13], -v[108:109]
	v_mul_f64 v[98:99], v[98:99], s[30:31]
	v_add_f64 v[94:95], v[94:95], v[110:111]
	v_mul_f64 v[38:39], v[74:75], s[18:19]
	v_fma_f64 v[108:109], v[96:97], s[0:1], v[121:122]
	v_fma_f64 v[110:111], v[96:97], s[18:19], v[121:122]
	;; [unrolled: 1-line block ×9, first 2 shown]
	v_add_f64 v[153:154], v[20:21], v[153:154]
	v_add_f64 v[44:45], v[22:23], v[44:45]
	;; [unrolled: 1-line block ×5, first 2 shown]
	v_fma_f64 v[32:33], v[80:81], s[22:23], v[133:134]
	v_fma_f64 v[34:35], v[80:81], s[30:31], v[133:134]
	v_fma_f64 v[133:134], v[80:81], s[0:1], v[135:136]
	v_fma_f64 v[80:81], v[80:81], s[18:19], v[135:136]
	v_mul_f64 v[135:136], v[74:75], s[28:29]
	v_mul_f64 v[74:75], v[74:75], s[30:31]
	v_add_f64 v[104:105], v[22:23], v[147:148]
	v_add_f64 v[147:148], v[20:21], v[149:150]
	;; [unrolled: 1-line block ×9, first 2 shown]
	v_fma_f64 v[92:93], v[70:71], s[20:21], v[36:37]
	v_fma_f64 v[36:37], v[70:71], s[20:21], -v[36:37]
	v_fma_f64 v[151:152], v[70:71], s[24:25], v[98:99]
	v_fma_f64 v[70:71], v[70:71], s[24:25], -v[98:99]
	v_add_f64 v[22:23], v[22:23], v[94:95]
	v_fma_f64 v[94:95], v[84:85], s[20:21], v[38:39]
	v_fma_f64 v[38:39], v[84:85], s[20:21], -v[38:39]
	v_fma_f64 v[98:99], v[84:85], s[2:3], v[141:142]
	v_fma_f64 v[141:142], v[84:85], s[2:3], -v[141:142]
	v_add_f64 v[44:45], v[131:132], v[44:45]
	v_mul_f64 v[131:132], v[72:73], s[28:29]
	v_add_f64 v[46:47], v[145:146], v[46:47]
	v_add_f64 v[143:144], v[143:144], v[153:154]
	v_mul_f64 v[153:154], v[82:83], s[16:17]
	v_mul_f64 v[145:146], v[82:83], s[12:13]
	v_add_f64 v[26:27], v[30:31], v[26:27]
	v_add_f64 v[24:25], v[28:29], v[24:25]
	;; [unrolled: 1-line block ×5, first 2 shown]
	v_mul_f64 v[155:156], v[82:83], s[20:21]
	v_fma_f64 v[28:29], v[84:85], s[12:13], v[135:136]
	v_fma_f64 v[30:31], v[84:85], s[12:13], -v[135:136]
	v_fma_f64 v[135:136], v[84:85], s[24:25], v[74:75]
	v_fma_f64 v[74:75], v[84:85], s[24:25], -v[74:75]
	v_mul_f64 v[84:85], v[88:89], s[24:25]
	v_add_f64 v[104:105], v[127:128], v[104:105]
	v_mul_f64 v[127:128], v[88:89], s[2:3]
	v_add_f64 v[137:138], v[137:138], v[147:148]
	v_mul_f64 v[147:148], v[88:89], s[16:17]
	v_mul_f64 v[88:89], v[88:89], s[20:21]
	v_add_f64 v[40:41], v[129:130], v[40:41]
	v_mul_f64 v[129:130], v[60:61], s[20:21]
	v_add_f64 v[42:43], v[139:140], v[42:43]
	;; [unrolled: 2-line block ×3, first 2 shown]
	v_mul_f64 v[163:164], v[72:73], s[6:7]
	v_mul_f64 v[72:73], v[72:73], s[26:27]
	v_add_f64 v[80:81], v[80:81], v[86:87]
	v_add_f64 v[36:37], v[36:37], v[90:91]
	;; [unrolled: 1-line block ×7, first 2 shown]
	v_mul_f64 v[157:158], v[82:83], s[2:3]
	v_mul_f64 v[82:83], v[82:83], s[24:25]
	;; [unrolled: 1-line block ×7, first 2 shown]
	v_fma_f64 v[159:160], v[60:61], s[12:13], v[131:132]
	v_add_f64 v[18:19], v[26:27], v[18:19]
	v_add_f64 v[16:17], v[24:25], v[16:17]
	v_fma_f64 v[24:25], v[62:63], s[10:11], v[106:107]
	v_fma_f64 v[26:27], v[62:63], s[28:29], v[106:107]
	v_fma_f64 v[131:132], v[60:61], s[12:13], -v[131:132]
	v_add_f64 v[34:35], v[123:124], v[34:35]
	v_add_f64 v[44:45], v[119:120], v[44:45]
	;; [unrolled: 1-line block ×5, first 2 shown]
	v_fma_f64 v[76:77], v[62:63], s[30:31], v[84:85]
	v_fma_f64 v[78:79], v[62:63], s[22:23], v[84:85]
	;; [unrolled: 1-line block ×6, first 2 shown]
	v_add_f64 v[68:69], v[68:69], v[88:89]
	v_add_f64 v[64:65], v[129:130], -v[64:65]
	v_add_f64 v[40:41], v[110:111], v[40:41]
	v_fma_f64 v[88:89], v[60:61], s[24:25], v[139:140]
	v_fma_f64 v[129:130], v[60:61], s[24:25], -v[139:140]
	v_fma_f64 v[139:140], v[60:61], s[2:3], v[163:164]
	v_fma_f64 v[147:148], v[60:61], s[2:3], -v[163:164]
	;; [unrolled: 2-line block ×3, first 2 shown]
	v_add_f64 v[80:81], v[96:97], v[80:81]
	v_add_f64 v[36:37], v[74:75], v[36:37]
	;; [unrolled: 1-line block ×12, first 2 shown]
	v_fma_f64 v[92:93], v[50:51], s[10:11], v[145:146]
	v_add_f64 v[14:15], v[18:19], v[14:15]
	v_add_f64 v[12:13], v[16:17], v[12:13]
	v_fma_f64 v[16:17], v[50:51], s[26:27], v[153:154]
	v_fma_f64 v[18:19], v[50:51], s[14:15], v[153:154]
	;; [unrolled: 1-line block ×7, first 2 shown]
	v_add_f64 v[54:55], v[54:55], v[82:83]
	v_add_f64 v[52:53], v[113:114], -v[52:53]
	v_fma_f64 v[82:83], v[48:49], s[16:17], v[86:87]
	v_fma_f64 v[86:87], v[48:49], s[16:17], -v[86:87]
	v_fma_f64 v[108:109], v[48:49], s[20:21], v[90:91]
	v_fma_f64 v[90:91], v[48:49], s[20:21], -v[90:91]
	;; [unrolled: 2-line block ×4, first 2 shown]
	v_add_f64 v[26:27], v[26:27], v[40:41]
	v_add_f64 v[34:35], v[106:107], v[34:35]
	;; [unrolled: 1-line block ×25, first 2 shown]
	v_mad_u32_u24 v44, 0xa0, v56, v112
	v_add_f64 v[30:31], v[50:51], v[62:63]
	v_add_f64 v[28:29], v[48:49], v[36:37]
	;; [unrolled: 1-line block ×15, first 2 shown]
	ds_store_b128 v44, v[28:31] offset:32
	ds_store_b128 v44, v[24:27] offset:48
	;; [unrolled: 1-line block ×9, first 2 shown]
	ds_store_b128 v44, v[4:7]
	ds_store_b128 v44, v[0:3] offset:160
.LBB0_13:
	s_or_b32 exec_lo, exec_lo, s33
	v_and_b32_e32 v4, 0xff, v56
	v_add_nc_u32_e32 v57, 0x9a, v56
	v_add_nc_u32_e32 v6, 0x134, v56
	v_add_nc_u32_e32 v7, 0x1ce, v56
	v_add_nc_u32_e32 v9, 0x268, v56
	v_mul_lo_u16 v4, 0x75, v4
	v_and_b32_e32 v8, 0xffff, v57
	v_and_b32_e32 v10, 0xffff, v6
	s_waitcnt lgkmcnt(0)
	s_barrier
	v_lshrrev_b16 v4, 8, v4
	v_mul_u32_u24_e32 v60, 0xba2f, v8
	v_and_b32_e32 v8, 0xffff, v9
	v_mul_u32_u24_e32 v10, 0xba2f, v10
	buffer_gl0_inv
	v_sub_nc_u16 v5, v56, v4
	v_lshrrev_b32_e32 v64, 19, v60
	v_cmp_gt_u32_e64 s0, 0x42, v56
	v_lshrrev_b32_e32 v65, 19, v10
	s_delay_alu instid0(VALU_DEP_4) | instskip(NEXT) | instid1(VALU_DEP_1)
	v_lshrrev_b16 v5, 1, v5
	v_and_b32_e32 v5, 0x7f, v5
	s_delay_alu instid0(VALU_DEP_1) | instskip(SKIP_1) | instid1(VALU_DEP_2)
	v_add_nc_u16 v4, v5, v4
	v_and_b32_e32 v5, 0xffff, v7
	v_lshrrev_b16 v63, 3, v4
	s_delay_alu instid0(VALU_DEP_2) | instskip(SKIP_1) | instid1(VALU_DEP_3)
	v_mul_u32_u24_e32 v4, 0xba2f, v5
	v_mul_u32_u24_e32 v5, 0xba2f, v8
	v_mul_lo_u16 v8, v63, 11
	s_delay_alu instid0(VALU_DEP_3) | instskip(SKIP_1) | instid1(VALU_DEP_4)
	v_lshrrev_b32_e32 v66, 19, v4
	v_mul_lo_u16 v4, v64, 11
	v_lshrrev_b32_e32 v67, 19, v5
	v_mul_lo_u16 v5, v65, 11
	v_sub_nc_u16 v8, v56, v8
	v_mul_lo_u16 v10, v66, 11
	v_sub_nc_u16 v4, v57, v4
	;; [unrolled: 2-line block ×3, first 2 shown]
	v_and_b32_e32 v6, 0xff, v8
	v_sub_nc_u16 v7, v7, v10
	v_and_b32_e32 v4, 0xffff, v4
	v_sub_nc_u16 v8, v9, v11
	v_and_b32_e32 v5, 0xffff, v5
	v_lshlrev_b32_e32 v68, 4, v6
	v_and_b32_e32 v9, 0xffff, v7
	v_lshlrev_b32_e32 v69, 4, v4
	;; [unrolled: 2-line block ×3, first 2 shown]
	global_load_b128 v[4:7], v68, s[4:5]
	v_lshlrev_b32_e32 v71, 4, v9
	global_load_b128 v[8:11], v69, s[4:5]
	v_lshlrev_b32_e32 v72, 4, v12
	s_clause 0x2
	global_load_b128 v[12:15], v70, s[4:5]
	global_load_b128 v[16:19], v71, s[4:5]
	;; [unrolled: 1-line block ×3, first 2 shown]
	ds_load_b128 v[24:27], v112 offset:12320
	ds_load_b128 v[28:31], v112 offset:14784
	;; [unrolled: 1-line block ×6, first 2 shown]
	s_waitcnt vmcnt(4) lgkmcnt(5)
	v_mul_f64 v[48:49], v[26:27], v[6:7]
	v_mul_f64 v[6:7], v[24:25], v[6:7]
	s_waitcnt vmcnt(3) lgkmcnt(4)
	v_mul_f64 v[50:51], v[30:31], v[10:11]
	v_mul_f64 v[10:11], v[28:29], v[10:11]
	;; [unrolled: 3-line block ×5, first 2 shown]
	v_fma_f64 v[48:49], v[24:25], v[4:5], -v[48:49]
	v_fma_f64 v[4:5], v[26:27], v[4:5], v[6:7]
	v_fma_f64 v[6:7], v[28:29], v[8:9], -v[50:51]
	v_fma_f64 v[8:9], v[30:31], v[8:9], v[10:11]
	;; [unrolled: 2-line block ×5, first 2 shown]
	ds_load_b128 v[12:15], v112
	ds_load_b128 v[16:19], v112 offset:2464
	ds_load_b128 v[20:23], v112 offset:4928
	;; [unrolled: 1-line block ×3, first 2 shown]
	s_waitcnt lgkmcnt(0)
	s_barrier
	buffer_gl0_inv
	v_add_f64 v[28:29], v[12:13], -v[48:49]
	v_add_f64 v[30:31], v[14:15], -v[4:5]
	;; [unrolled: 1-line block ×10, first 2 shown]
	v_mul_u32_u24_e32 v48, 0x160, v67
	s_delay_alu instid0(VALU_DEP_1)
	v_add3_u32 v48, 0, v48, v72
	v_fma_f64 v[40:41], v[12:13], 2.0, -v[28:29]
	v_fma_f64 v[42:43], v[14:15], 2.0, -v[30:31]
	;; [unrolled: 1-line block ×10, first 2 shown]
	v_and_b32_e32 v44, 0xffff, v63
	v_mul_u32_u24_e32 v45, 0x160, v64
	v_mul_u32_u24_e32 v46, 0x160, v65
	;; [unrolled: 1-line block ×3, first 2 shown]
	s_delay_alu instid0(VALU_DEP_4) | instskip(NEXT) | instid1(VALU_DEP_4)
	v_mul_u32_u24_e32 v44, 0x160, v44
	v_add3_u32 v45, 0, v45, v69
	s_delay_alu instid0(VALU_DEP_4) | instskip(NEXT) | instid1(VALU_DEP_4)
	v_add3_u32 v46, 0, v46, v70
	v_add3_u32 v47, 0, v47, v71
	s_delay_alu instid0(VALU_DEP_4)
	v_add3_u32 v44, 0, v44, v68
	ds_store_b128 v44, v[40:43]
	ds_store_b128 v44, v[28:31] offset:176
	ds_store_b128 v45, v[16:19]
	ds_store_b128 v45, v[32:35] offset:176
	;; [unrolled: 2-line block ×5, first 2 shown]
	s_waitcnt lgkmcnt(0)
	s_barrier
	buffer_gl0_inv
	ds_load_b128 v[28:31], v112
	ds_load_b128 v[48:51], v112 offset:3520
	ds_load_b128 v[44:47], v112 offset:7040
	;; [unrolled: 1-line block ×6, first 2 shown]
                                        ; implicit-def: $vgpr26_vgpr27
                                        ; implicit-def: $vgpr22_vgpr23
                                        ; implicit-def: $vgpr18_vgpr19
	s_and_saveexec_b32 s1, s0
	s_cbranch_execz .LBB0_15
; %bb.14:
	ds_load_b128 v[4:7], v112 offset:2464
	ds_load_b128 v[12:15], v112 offset:5984
	;; [unrolled: 1-line block ×7, first 2 shown]
.LBB0_15:
	s_or_b32 exec_lo, exec_lo, s1
	v_lshrrev_b16 v61, 1, v56
	s_mov_b32 s6, 0x37e14327
	s_mov_b32 s10, 0xe976ee23
	;; [unrolled: 1-line block ×4, first 2 shown]
	v_and_b32_e32 v61, 0x7f, v61
	s_mov_b32 s2, 0x429ad128
	s_mov_b32 s3, 0x3febfeb5
	s_mov_b32 s16, 0x36b3c0b5
	s_mov_b32 s17, 0x3fac98ee
	v_mul_lo_u16 v61, 0xbb, v61
	s_mov_b32 s12, 0xaaaaaaaa
	s_mov_b32 s20, 0xb247c609
	;; [unrolled: 1-line block ×4, first 2 shown]
	v_lshrrev_b16 v97, 11, v61
	s_mov_b32 s21, 0x3fd5d0dc
	s_mov_b32 s15, 0x3fe77f67
	;; [unrolled: 1-line block ×4, first 2 shown]
	v_mul_lo_u16 v61, v97, 22
	s_mov_b32 s18, s14
	s_mov_b32 s22, s20
	;; [unrolled: 1-line block ×4, first 2 shown]
	v_sub_nc_u16 v61, v56, v61
	s_delay_alu instid0(VALU_DEP_1) | instskip(NEXT) | instid1(VALU_DEP_1)
	v_and_b32_e32 v98, 0xff, v61
	v_mul_u32_u24_e32 v61, 6, v98
	s_delay_alu instid0(VALU_DEP_1)
	v_lshlrev_b32_e32 v81, 4, v61
	s_clause 0x5
	global_load_b128 v[61:64], v81, s[4:5] offset:176
	global_load_b128 v[65:68], v81, s[4:5] offset:192
	;; [unrolled: 1-line block ×6, first 2 shown]
	s_waitcnt vmcnt(0) lgkmcnt(0)
	s_barrier
	buffer_gl0_inv
	v_mul_f64 v[85:86], v[50:51], v[63:64]
	v_mul_f64 v[63:64], v[48:49], v[63:64]
	;; [unrolled: 1-line block ×12, first 2 shown]
	v_fma_f64 v[48:49], v[48:49], v[61:62], -v[85:86]
	v_fma_f64 v[50:51], v[50:51], v[61:62], v[63:64]
	v_fma_f64 v[44:45], v[44:45], v[65:66], -v[87:88]
	v_fma_f64 v[46:47], v[46:47], v[65:66], v[67:68]
	;; [unrolled: 2-line block ×6, first 2 shown]
	v_add_f64 v[61:62], v[48:49], v[52:53]
	v_add_f64 v[63:64], v[50:51], v[54:55]
	;; [unrolled: 1-line block ×4, first 2 shown]
	v_add_f64 v[40:41], v[44:45], -v[40:41]
	v_add_f64 v[42:43], v[46:47], -v[42:43]
	v_add_f64 v[44:45], v[36:37], v[32:33]
	v_add_f64 v[46:47], v[38:39], v[34:35]
	v_add_f64 v[32:33], v[32:33], -v[36:37]
	v_add_f64 v[34:35], v[34:35], -v[38:39]
	;; [unrolled: 1-line block ×4, first 2 shown]
	v_add_f64 v[48:49], v[65:66], v[61:62]
	v_add_f64 v[50:51], v[67:68], v[63:64]
	v_add_f64 v[52:53], v[61:62], -v[44:45]
	v_add_f64 v[54:55], v[63:64], -v[46:47]
	;; [unrolled: 1-line block ×6, first 2 shown]
	v_add_f64 v[40:41], v[32:33], v[40:41]
	v_add_f64 v[42:43], v[34:35], v[42:43]
	v_add_f64 v[32:33], v[36:37], -v[32:33]
	v_add_f64 v[34:35], v[38:39], -v[34:35]
	;; [unrolled: 1-line block ×4, first 2 shown]
	v_add_f64 v[48:49], v[44:45], v[48:49]
	v_add_f64 v[50:51], v[46:47], v[50:51]
	v_add_f64 v[44:45], v[44:45], -v[65:66]
	v_add_f64 v[46:47], v[46:47], -v[67:68]
	v_mul_f64 v[52:53], v[52:53], s[6:7]
	v_mul_f64 v[54:55], v[54:55], s[6:7]
	;; [unrolled: 1-line block ×6, first 2 shown]
	v_add_f64 v[36:37], v[40:41], v[36:37]
	v_add_f64 v[38:39], v[42:43], v[38:39]
	;; [unrolled: 1-line block ×4, first 2 shown]
	v_mul_f64 v[65:66], v[44:45], s[16:17]
	v_mul_f64 v[67:68], v[46:47], s[16:17]
	v_fma_f64 v[40:41], v[44:45], s[16:17], v[52:53]
	v_fma_f64 v[42:43], v[46:47], s[16:17], v[54:55]
	;; [unrolled: 1-line block ×4, first 2 shown]
	v_fma_f64 v[69:70], v[73:74], s[2:3], -v[69:70]
	v_fma_f64 v[71:72], v[75:76], s[2:3], -v[71:72]
	v_fma_f64 v[32:33], v[32:33], s[22:23], -v[77:78]
	v_fma_f64 v[34:35], v[34:35], s[22:23], -v[79:80]
	v_fma_f64 v[52:53], v[61:62], s[18:19], -v[52:53]
	v_fma_f64 v[54:55], v[63:64], s[18:19], -v[54:55]
	v_fma_f64 v[48:49], v[48:49], s[12:13], v[28:29]
	v_fma_f64 v[50:51], v[50:51], s[12:13], v[30:31]
	v_fma_f64 v[61:62], v[61:62], s[14:15], -v[65:66]
	v_fma_f64 v[63:64], v[63:64], s[14:15], -v[67:68]
	v_fma_f64 v[65:66], v[36:37], s[24:25], v[44:45]
	v_fma_f64 v[67:68], v[38:39], s[24:25], v[46:47]
	;; [unrolled: 1-line block ×6, first 2 shown]
	v_add_f64 v[73:74], v[40:41], v[48:49]
	v_add_f64 v[75:76], v[42:43], v[50:51]
	;; [unrolled: 1-line block ×6, first 2 shown]
	v_and_b32_e32 v61, 0xffff, v97
	v_lshlrev_b32_e32 v62, 4, v98
	s_delay_alu instid0(VALU_DEP_2) | instskip(NEXT) | instid1(VALU_DEP_1)
	v_mul_u32_u24_e32 v61, 0x9a0, v61
	v_add3_u32 v61, 0, v61, v62
	v_add_f64 v[32:33], v[67:68], v[73:74]
	v_add_f64 v[34:35], v[75:76], -v[65:66]
	v_add_f64 v[36:37], v[71:72], v[52:53]
	v_add_f64 v[38:39], v[54:55], -v[69:70]
	v_add_f64 v[40:41], v[48:49], -v[44:45]
	v_add_f64 v[42:43], v[46:47], v[50:51]
	v_add_f64 v[44:45], v[44:45], v[48:49]
	v_add_f64 v[46:47], v[50:51], -v[46:47]
	v_add_f64 v[48:49], v[52:53], -v[71:72]
	v_add_f64 v[50:51], v[69:70], v[54:55]
	v_add_f64 v[52:53], v[73:74], -v[67:68]
	v_add_f64 v[54:55], v[65:66], v[75:76]
	ds_store_b128 v61, v[28:31]
	ds_store_b128 v61, v[32:35] offset:352
	ds_store_b128 v61, v[36:39] offset:704
	;; [unrolled: 1-line block ×6, first 2 shown]
	s_and_saveexec_b32 s1, s0
	s_cbranch_execz .LBB0_17
; %bb.16:
	v_lshrrev_b32_e32 v28, 20, v60
	s_delay_alu instid0(VALU_DEP_1) | instskip(NEXT) | instid1(VALU_DEP_1)
	v_mul_lo_u16 v28, v28, 22
	v_sub_nc_u16 v28, v57, v28
	s_delay_alu instid0(VALU_DEP_1) | instskip(NEXT) | instid1(VALU_DEP_1)
	v_and_b32_e32 v68, 0xffff, v28
	v_mul_u32_u24_e32 v28, 6, v68
	s_delay_alu instid0(VALU_DEP_1)
	v_lshlrev_b32_e32 v48, 4, v28
	s_clause 0x5
	global_load_b128 v[28:31], v48, s[4:5] offset:192
	global_load_b128 v[32:35], v48, s[4:5] offset:240
	;; [unrolled: 1-line block ×6, first 2 shown]
	s_waitcnt vmcnt(5)
	v_mul_f64 v[52:53], v[8:9], v[30:31]
	s_waitcnt vmcnt(4)
	v_mul_f64 v[54:55], v[20:21], v[34:35]
	;; [unrolled: 2-line block ×4, first 2 shown]
	v_mul_f64 v[30:31], v[10:11], v[30:31]
	v_mul_f64 v[34:35], v[22:23], v[34:35]
	;; [unrolled: 1-line block ×4, first 2 shown]
	s_waitcnt vmcnt(1)
	v_mul_f64 v[64:65], v[18:19], v[46:47]
	s_waitcnt vmcnt(0)
	v_mul_f64 v[66:67], v[2:3], v[50:51]
	v_mul_f64 v[50:51], v[0:1], v[50:51]
	;; [unrolled: 1-line block ×3, first 2 shown]
	v_fma_f64 v[10:11], v[10:11], v[28:29], v[52:53]
	v_fma_f64 v[22:23], v[22:23], v[32:33], v[54:55]
	v_fma_f64 v[14:15], v[14:15], v[36:37], v[60:61]
	v_fma_f64 v[26:27], v[26:27], v[40:41], v[62:63]
	v_fma_f64 v[8:9], v[8:9], v[28:29], -v[30:31]
	v_fma_f64 v[20:21], v[20:21], v[32:33], -v[34:35]
	;; [unrolled: 1-line block ×6, first 2 shown]
	v_fma_f64 v[2:3], v[2:3], v[48:49], v[50:51]
	v_fma_f64 v[18:19], v[18:19], v[44:45], v[46:47]
	v_add_f64 v[28:29], v[10:11], v[22:23]
	v_add_f64 v[10:11], v[10:11], -v[22:23]
	v_add_f64 v[30:31], v[14:15], v[26:27]
	v_add_f64 v[14:15], v[14:15], -v[26:27]
	;; [unrolled: 2-line block ×4, first 2 shown]
	v_add_f64 v[36:37], v[16:17], -v[0:1]
	v_add_f64 v[0:1], v[0:1], v[16:17]
	v_add_f64 v[20:21], v[2:3], v[18:19]
	v_add_f64 v[2:3], v[18:19], -v[2:3]
	v_add_f64 v[16:17], v[28:29], v[30:31]
	v_add_f64 v[42:43], v[10:11], -v[14:15]
	;; [unrolled: 2-line block ×3, first 2 shown]
	v_add_f64 v[22:23], v[36:37], -v[8:9]
	v_add_f64 v[26:27], v[34:35], -v[0:1]
	;; [unrolled: 1-line block ×5, first 2 shown]
	v_add_f64 v[8:9], v[36:37], v[8:9]
	v_add_f64 v[36:37], v[12:13], -v[36:37]
	v_add_f64 v[10:11], v[2:3], v[10:11]
	v_add_f64 v[48:49], v[14:15], -v[2:3]
	;; [unrolled: 2-line block ×3, first 2 shown]
	v_add_f64 v[18:19], v[0:1], v[18:19]
	v_mul_f64 v[46:47], v[38:39], s[2:3]
	v_mul_f64 v[22:23], v[22:23], s[10:11]
	;; [unrolled: 1-line block ×4, first 2 shown]
	v_add_f64 v[8:9], v[8:9], v[12:13]
	v_add_f64 v[10:11], v[10:11], v[14:15]
	;; [unrolled: 1-line block ×3, first 2 shown]
	v_add_f64 v[6:7], v[28:29], -v[30:31]
	v_mul_f64 v[28:29], v[20:21], s[16:17]
	v_mul_f64 v[30:31], v[40:41], s[10:11]
	v_add_f64 v[0:1], v[4:5], v[18:19]
	v_mul_f64 v[40:41], v[42:43], s[2:3]
	v_add_f64 v[4:5], v[32:33], -v[34:35]
	v_mul_f64 v[32:33], v[44:45], s[16:17]
	v_fma_f64 v[12:13], v[36:37], s[20:21], v[22:23]
	v_fma_f64 v[14:15], v[20:21], s[16:17], v[24:25]
	;; [unrolled: 1-line block ×3, first 2 shown]
	v_fma_f64 v[34:35], v[36:37], s[22:23], -v[46:47]
	v_fma_f64 v[22:23], v[38:39], s[2:3], -v[22:23]
	v_fma_f64 v[16:17], v[16:17], s[12:13], v[2:3]
	v_fma_f64 v[24:25], v[6:7], s[18:19], -v[24:25]
	v_fma_f64 v[6:7], v[6:7], s[14:15], -v[28:29]
	v_fma_f64 v[28:29], v[48:49], s[20:21], v[30:31]
	v_fma_f64 v[18:19], v[18:19], s[12:13], v[0:1]
	v_fma_f64 v[36:37], v[48:49], s[22:23], -v[40:41]
	v_fma_f64 v[26:27], v[4:5], s[18:19], -v[26:27]
	;; [unrolled: 1-line block ×4, first 2 shown]
	v_fma_f64 v[12:13], v[8:9], s[24:25], v[12:13]
	v_lshrrev_b16 v42, 1, v57
	v_fma_f64 v[32:33], v[8:9], s[24:25], v[34:35]
	v_fma_f64 v[8:9], v[8:9], s[24:25], v[22:23]
	v_add_f64 v[34:35], v[14:15], v[16:17]
	v_add_f64 v[22:23], v[24:25], v[16:17]
	;; [unrolled: 1-line block ×3, first 2 shown]
	v_fma_f64 v[28:29], v[10:11], s[24:25], v[28:29]
	v_add_f64 v[38:39], v[20:21], v[18:19]
	v_fma_f64 v[36:37], v[10:11], s[24:25], v[36:37]
	v_add_f64 v[40:41], v[26:27], v[18:19]
	;; [unrolled: 2-line block ×3, first 2 shown]
	v_add_f64 v[26:27], v[34:35], -v[12:13]
	v_add_f64 v[10:11], v[32:33], v[22:23]
	v_add_f64 v[22:23], v[22:23], -v[32:33]
	v_add_f64 v[14:15], v[16:17], -v[8:9]
	v_add_f64 v[24:25], v[28:29], v[38:39]
	v_add_f64 v[18:19], v[8:9], v[16:17]
	;; [unrolled: 1-line block ×4, first 2 shown]
	v_add_f64 v[16:17], v[4:5], -v[30:31]
	v_add_f64 v[12:13], v[30:31], v[4:5]
	v_add_f64 v[8:9], v[40:41], -v[36:37]
	v_add_f64 v[4:5], v[38:39], -v[28:29]
	v_and_b32_e32 v28, 0x7f, v42
	v_lshlrev_b32_e32 v29, 4, v68
	s_delay_alu instid0(VALU_DEP_2) | instskip(NEXT) | instid1(VALU_DEP_1)
	v_mul_lo_u16 v28, 0xbb, v28
	v_lshrrev_b16 v28, 11, v28
	s_delay_alu instid0(VALU_DEP_1) | instskip(NEXT) | instid1(VALU_DEP_1)
	v_and_b32_e32 v28, 0xffff, v28
	v_mul_u32_u24_e32 v28, 0x9a0, v28
	s_delay_alu instid0(VALU_DEP_1)
	v_add3_u32 v28, 0, v28, v29
	ds_store_b128 v28, v[0:3]
	ds_store_b128 v28, v[24:27] offset:352
	ds_store_b128 v28, v[20:23] offset:704
	;; [unrolled: 1-line block ×6, first 2 shown]
.LBB0_17:
	s_or_b32 exec_lo, exec_lo, s1
	v_dual_mov_b32 v1, 0 :: v_dual_lshlrev_b32 v0, 2, v56
	s_waitcnt lgkmcnt(0)
	s_barrier
	buffer_gl0_inv
	s_mov_b32 s3, 0xbfee6f0e
	v_lshlrev_b64 v[2:3], 4, v[0:1]
	v_mov_b32_e32 v57, v1
	s_delay_alu instid0(VALU_DEP_2) | instskip(NEXT) | instid1(VALU_DEP_1)
	v_add_co_u32 v14, s0, s4, v2
	v_add_co_ci_u32_e64 v15, s0, s5, v3, s0
	s_mov_b32 s0, 0x134454ff
	s_mov_b32 s1, 0x3fee6f0e
	s_clause 0x3
	global_load_b128 v[2:5], v[14:15], off offset:2288
	global_load_b128 v[6:9], v[14:15], off offset:2304
	;; [unrolled: 1-line block ×4, first 2 shown]
	ds_load_b128 v[18:21], v112 offset:4928
	ds_load_b128 v[22:25], v112 offset:9856
	;; [unrolled: 1-line block ×8, first 2 shown]
	s_mov_b32 s2, s0
	s_waitcnt vmcnt(3) lgkmcnt(7)
	v_mul_f64 v[50:51], v[20:21], v[4:5]
	s_waitcnt vmcnt(2) lgkmcnt(6)
	v_mul_f64 v[52:53], v[24:25], v[8:9]
	;; [unrolled: 2-line block ×3, first 2 shown]
	v_mul_f64 v[64:65], v[22:23], v[8:9]
	v_mul_f64 v[66:67], v[26:27], v[12:13]
	;; [unrolled: 1-line block ×3, first 2 shown]
	s_waitcnt vmcnt(0) lgkmcnt(4)
	v_mul_f64 v[62:63], v[32:33], v[16:17]
	v_mul_f64 v[68:69], v[30:31], v[16:17]
	s_waitcnt lgkmcnt(2)
	v_mul_f64 v[72:73], v[40:41], v[8:9]
	s_waitcnt lgkmcnt(1)
	v_mul_f64 v[74:75], v[44:45], v[12:13]
	v_mul_f64 v[8:9], v[38:39], v[8:9]
	;; [unrolled: 1-line block ×4, first 2 shown]
	s_waitcnt lgkmcnt(0)
	v_mul_f64 v[76:77], v[48:49], v[16:17]
	v_mul_f64 v[4:5], v[34:35], v[4:5]
	;; [unrolled: 1-line block ×3, first 2 shown]
	v_fma_f64 v[18:19], v[18:19], v[2:3], -v[50:51]
	v_fma_f64 v[22:23], v[22:23], v[6:7], -v[52:53]
	;; [unrolled: 1-line block ×3, first 2 shown]
	v_fma_f64 v[24:25], v[24:25], v[6:7], v[64:65]
	v_fma_f64 v[28:29], v[28:29], v[10:11], v[66:67]
	;; [unrolled: 1-line block ×3, first 2 shown]
	v_fma_f64 v[30:31], v[30:31], v[14:15], -v[62:63]
	v_fma_f64 v[32:33], v[32:33], v[14:15], v[68:69]
	v_fma_f64 v[38:39], v[38:39], v[6:7], -v[72:73]
	v_fma_f64 v[42:43], v[42:43], v[10:11], -v[74:75]
	v_fma_f64 v[40:41], v[40:41], v[6:7], v[8:9]
	v_fma_f64 v[10:11], v[44:45], v[10:11], v[12:13]
	v_fma_f64 v[34:35], v[34:35], v[2:3], -v[70:71]
	v_fma_f64 v[46:47], v[46:47], v[14:15], -v[76:77]
	v_fma_f64 v[12:13], v[36:37], v[2:3], v[4:5]
	v_fma_f64 v[14:15], v[48:49], v[14:15], v[16:17]
	ds_load_b128 v[2:5], v112
	ds_load_b128 v[6:9], v112 offset:2464
	s_waitcnt lgkmcnt(0)
	s_barrier
	buffer_gl0_inv
	v_add_f64 v[62:63], v[2:3], v[18:19]
	v_add_f64 v[16:17], v[22:23], v[26:27]
	;; [unrolled: 1-line block ×6, first 2 shown]
	v_add_f64 v[64:65], v[20:21], -v[32:33]
	v_add_f64 v[50:51], v[38:39], v[42:43]
	v_add_f64 v[74:75], v[18:19], -v[30:31]
	v_add_f64 v[54:55], v[40:41], v[10:11]
	v_add_f64 v[70:71], v[6:7], v[34:35]
	;; [unrolled: 1-line block ×5, first 2 shown]
	v_add_f64 v[66:67], v[24:25], -v[28:29]
	v_add_f64 v[76:77], v[12:13], -v[14:15]
	;; [unrolled: 1-line block ×17, first 2 shown]
	v_fma_f64 v[16:17], v[16:17], -0.5, v[2:3]
	v_fma_f64 v[44:45], v[44:45], -0.5, v[4:5]
	v_add_f64 v[24:25], v[68:69], v[24:25]
	v_fma_f64 v[2:3], v[36:37], -0.5, v[2:3]
	v_add_f64 v[36:37], v[22:23], -v[26:27]
	v_fma_f64 v[4:5], v[48:49], -0.5, v[4:5]
	v_fma_f64 v[50:51], v[50:51], -0.5, v[6:7]
	v_add_f64 v[48:49], v[40:41], -v[10:11]
	v_fma_f64 v[54:55], v[54:55], -0.5, v[8:9]
	;; [unrolled: 3-line block ×3, first 2 shown]
	v_add_f64 v[60:61], v[18:19], -v[22:23]
	v_add_f64 v[18:19], v[22:23], -v[18:19]
	v_add_f64 v[22:23], v[62:63], v[22:23]
	v_add_f64 v[38:39], v[70:71], v[38:39]
	;; [unrolled: 1-line block ×3, first 2 shown]
	v_fma_f64 v[62:63], v[64:65], s[0:1], v[16:17]
	v_fma_f64 v[16:17], v[64:65], s[2:3], v[16:17]
	;; [unrolled: 1-line block ×16, first 2 shown]
	s_mov_b32 s0, 0x4755a5e
	s_mov_b32 s1, 0x3fe2cf23
	;; [unrolled: 1-line block ×4, first 2 shown]
	v_add_f64 v[60:61], v[60:61], v[80:81]
	v_add_f64 v[80:81], v[18:19], v[82:83]
	;; [unrolled: 1-line block ×12, first 2 shown]
	v_fma_f64 v[24:25], v[66:67], s[0:1], v[62:63]
	v_fma_f64 v[16:17], v[66:67], s[2:3], v[16:17]
	;; [unrolled: 1-line block ×16, first 2 shown]
	s_mov_b32 s0, 0x372fe950
	s_mov_b32 s1, 0x3fd3c6ef
	s_mov_b32 s3, exec_lo
	v_add_f64 v[2:3], v[12:13], v[30:31]
	v_add_f64 v[4:5], v[18:19], v[32:33]
	;; [unrolled: 1-line block ×4, first 2 shown]
	v_fma_f64 v[14:15], v[60:61], s[0:1], v[24:25]
	v_fma_f64 v[18:19], v[60:61], s[0:1], v[16:17]
	;; [unrolled: 1-line block ×16, first 2 shown]
	v_lshlrev_b64 v[8:9], 4, v[56:57]
	s_add_u32 s1, s4, 0x5f90
	s_addc_u32 s2, s5, 0
	ds_store_b128 v112, v[2:5]
	ds_store_b128 v112, v[14:17] offset:2464
	ds_store_b128 v112, v[22:25] offset:4928
	;; [unrolled: 1-line block ×9, first 2 shown]
	v_add_co_u32 v48, s0, s4, v8
	s_delay_alu instid0(VALU_DEP_1) | instskip(SKIP_1) | instid1(VALU_DEP_2)
	v_add_co_ci_u32_e64 v49, s0, s5, v9, s0
	s_waitcnt lgkmcnt(0)
	v_add_co_u32 v0, s0, 0x2000, v48
	s_delay_alu instid0(VALU_DEP_1) | instskip(SKIP_1) | instid1(VALU_DEP_1)
	v_add_co_ci_u32_e64 v1, s0, 0, v49, s0
	v_add_co_u32 v6, s0, 0x3000, v48
	v_add_co_ci_u32_e64 v7, s0, 0, v49, s0
	v_add_co_u32 v46, s0, 0x4000, v48
	s_delay_alu instid0(VALU_DEP_1)
	v_add_co_ci_u32_e64 v47, s0, 0, v49, s0
	v_add_co_u32 v18, s0, 0x5000, v48
	s_barrier
	buffer_gl0_inv
	s_clause 0x1
	global_load_b128 v[0:3], v[0:1], off offset:3952
	global_load_b128 v[4:7], v[6:7], off offset:2320
	v_add_co_ci_u32_e64 v19, s0, 0, v49, s0
	s_clause 0x2
	global_load_b128 v[10:13], v[46:47], off offset:688
	global_load_b128 v[14:17], v[46:47], off offset:3152
	;; [unrolled: 1-line block ×3, first 2 shown]
	ds_load_b128 v[22:25], v112 offset:12320
	ds_load_b128 v[26:29], v112 offset:14784
	;; [unrolled: 1-line block ×6, first 2 shown]
	s_waitcnt vmcnt(4) lgkmcnt(5)
	v_mul_f64 v[46:47], v[24:25], v[2:3]
	v_mul_f64 v[2:3], v[22:23], v[2:3]
	s_waitcnt vmcnt(3) lgkmcnt(4)
	v_mul_f64 v[48:49], v[28:29], v[6:7]
	v_mul_f64 v[6:7], v[26:27], v[6:7]
	;; [unrolled: 3-line block ×5, first 2 shown]
	v_fma_f64 v[22:23], v[22:23], v[0:1], -v[46:47]
	v_fma_f64 v[24:25], v[24:25], v[0:1], v[2:3]
	v_fma_f64 v[26:27], v[26:27], v[4:5], -v[48:49]
	v_fma_f64 v[28:29], v[28:29], v[4:5], v[6:7]
	;; [unrolled: 2-line block ×5, first 2 shown]
	ds_load_b128 v[0:3], v112
	ds_load_b128 v[4:7], v112 offset:2464
	ds_load_b128 v[10:13], v112 offset:4928
	;; [unrolled: 1-line block ×3, first 2 shown]
	s_waitcnt lgkmcnt(0)
	s_barrier
	buffer_gl0_inv
	v_add_f64 v[18:19], v[0:1], -v[22:23]
	v_add_f64 v[20:21], v[2:3], -v[24:25]
	;; [unrolled: 1-line block ×10, first 2 shown]
	v_fma_f64 v[0:1], v[0:1], 2.0, -v[18:19]
	v_fma_f64 v[2:3], v[2:3], 2.0, -v[20:21]
	;; [unrolled: 1-line block ×10, first 2 shown]
	ds_store_b128 v112, v[22:25] offset:14784
	ds_store_b128 v112, v[26:29] offset:17248
	;; [unrolled: 1-line block ×4, first 2 shown]
	ds_store_b128 v112, v[0:3]
	ds_store_b128 v112, v[4:7] offset:2464
	ds_store_b128 v112, v[10:13] offset:4928
	;; [unrolled: 1-line block ×5, first 2 shown]
	s_waitcnt lgkmcnt(0)
	s_barrier
	buffer_gl0_inv
	ds_load_b128 v[4:7], v112
	v_lshlrev_b32_e32 v0, 4, v56
                                        ; implicit-def: $vgpr10_vgpr11
                                        ; implicit-def: $vgpr12_vgpr13
	s_delay_alu instid0(VALU_DEP_1)
	v_sub_nc_u32_e32 v14, 0, v0
                                        ; implicit-def: $vgpr0_vgpr1
	v_cmpx_ne_u32_e32 0, v56
	s_xor_b32 s3, exec_lo, s3
	s_cbranch_execz .LBB0_19
; %bb.18:
	v_add_co_u32 v0, s0, s1, v8
	s_delay_alu instid0(VALU_DEP_1)
	v_add_co_ci_u32_e64 v1, s0, s2, v9, s0
	global_load_b128 v[15:18], v[0:1], off
	ds_load_b128 v[0:3], v14 offset:24640
	s_waitcnt lgkmcnt(0)
	v_add_f64 v[10:11], v[4:5], -v[0:1]
	v_add_f64 v[12:13], v[6:7], v[2:3]
	v_add_f64 v[2:3], v[6:7], -v[2:3]
	v_add_f64 v[0:1], v[4:5], v[0:1]
	s_delay_alu instid0(VALU_DEP_4) | instskip(NEXT) | instid1(VALU_DEP_4)
	v_mul_f64 v[6:7], v[10:11], 0.5
	v_mul_f64 v[4:5], v[12:13], 0.5
	s_delay_alu instid0(VALU_DEP_4) | instskip(SKIP_1) | instid1(VALU_DEP_3)
	v_mul_f64 v[2:3], v[2:3], 0.5
	s_waitcnt vmcnt(0)
	v_mul_f64 v[10:11], v[6:7], v[17:18]
	s_delay_alu instid0(VALU_DEP_2) | instskip(SKIP_1) | instid1(VALU_DEP_3)
	v_fma_f64 v[12:13], v[4:5], v[17:18], v[2:3]
	v_fma_f64 v[2:3], v[4:5], v[17:18], -v[2:3]
	v_fma_f64 v[19:20], v[0:1], 0.5, v[10:11]
	v_fma_f64 v[0:1], v[0:1], 0.5, -v[10:11]
	s_delay_alu instid0(VALU_DEP_4) | instskip(NEXT) | instid1(VALU_DEP_4)
	v_fma_f64 v[12:13], -v[15:16], v[6:7], v[12:13]
	v_fma_f64 v[2:3], -v[15:16], v[6:7], v[2:3]
	s_delay_alu instid0(VALU_DEP_4) | instskip(NEXT) | instid1(VALU_DEP_4)
	v_fma_f64 v[10:11], v[4:5], v[15:16], v[19:20]
	v_fma_f64 v[0:1], -v[4:5], v[15:16], v[0:1]
                                        ; implicit-def: $vgpr4_vgpr5
.LBB0_19:
	s_and_not1_saveexec_b32 s0, s3
	s_cbranch_execz .LBB0_21
; %bb.20:
	s_waitcnt lgkmcnt(0)
	v_add_f64 v[10:11], v[4:5], v[6:7]
	v_add_f64 v[0:1], v[4:5], -v[6:7]
	v_mov_b32_e32 v6, 0
	v_mov_b32_e32 v12, 0
	;; [unrolled: 1-line block ×3, first 2 shown]
	s_delay_alu instid0(VALU_DEP_2)
	v_mov_b32_e32 v2, v12
	ds_load_b64 v[4:5], v6 offset:12328
	v_mov_b32_e32 v3, v13
	s_waitcnt lgkmcnt(0)
	v_xor_b32_e32 v5, 0x80000000, v5
	ds_store_b64 v6, v[4:5] offset:12328
.LBB0_21:
	s_or_b32 exec_lo, exec_lo, s0
	v_add_co_u32 v19, s0, s1, v8
	s_delay_alu instid0(VALU_DEP_1) | instskip(NEXT) | instid1(VALU_DEP_2)
	v_add_co_ci_u32_e64 v20, s0, s2, v9, s0
	v_add_co_u32 v21, s0, 0x1000, v19
	s_waitcnt lgkmcnt(0)
	global_load_b128 v[4:7], v[19:20], off offset:2464
	v_add_co_ci_u32_e64 v22, s0, 0, v20, s0
	global_load_b128 v[15:18], v[21:22], off offset:832
	ds_store_2addr_b64 v112, v[10:11], v[12:13] offset1:1
	ds_store_b128 v14, v[0:3] offset:24640
	ds_load_b128 v[0:3], v112 offset:2464
	ds_load_b128 v[10:13], v14 offset:22176
	s_waitcnt lgkmcnt(0)
	v_add_f64 v[23:24], v[0:1], -v[10:11]
	v_add_f64 v[25:26], v[2:3], v[12:13]
	v_add_f64 v[2:3], v[2:3], -v[12:13]
	v_add_f64 v[0:1], v[0:1], v[10:11]
	s_delay_alu instid0(VALU_DEP_4) | instskip(NEXT) | instid1(VALU_DEP_4)
	v_mul_f64 v[12:13], v[23:24], 0.5
	v_mul_f64 v[23:24], v[25:26], 0.5
	s_delay_alu instid0(VALU_DEP_4) | instskip(SKIP_1) | instid1(VALU_DEP_3)
	v_mul_f64 v[2:3], v[2:3], 0.5
	s_waitcnt vmcnt(1)
	v_mul_f64 v[10:11], v[12:13], v[6:7]
	s_delay_alu instid0(VALU_DEP_2) | instskip(SKIP_1) | instid1(VALU_DEP_3)
	v_fma_f64 v[25:26], v[23:24], v[6:7], v[2:3]
	v_fma_f64 v[2:3], v[23:24], v[6:7], -v[2:3]
	v_fma_f64 v[6:7], v[0:1], 0.5, v[10:11]
	v_fma_f64 v[0:1], v[0:1], 0.5, -v[10:11]
	s_delay_alu instid0(VALU_DEP_4) | instskip(NEXT) | instid1(VALU_DEP_4)
	v_fma_f64 v[10:11], -v[4:5], v[12:13], v[25:26]
	v_fma_f64 v[2:3], -v[4:5], v[12:13], v[2:3]
	s_delay_alu instid0(VALU_DEP_4) | instskip(NEXT) | instid1(VALU_DEP_4)
	v_fma_f64 v[12:13], v[23:24], v[4:5], v[6:7]
	v_fma_f64 v[0:1], -v[23:24], v[4:5], v[0:1]
	global_load_b128 v[4:7], v[21:22], off offset:3296
	v_add_nc_u32_e32 v21, 0x800, v112
	ds_store_2addr_b64 v21, v[12:13], v[10:11] offset0:52 offset1:53
	ds_store_b128 v14, v[0:3] offset:22176
	ds_load_b128 v[0:3], v112 offset:4928
	ds_load_b128 v[10:13], v14 offset:19712
	s_waitcnt lgkmcnt(0)
	v_add_f64 v[21:22], v[0:1], -v[10:11]
	v_add_f64 v[23:24], v[2:3], v[12:13]
	v_add_f64 v[2:3], v[2:3], -v[12:13]
	v_add_f64 v[0:1], v[0:1], v[10:11]
	s_delay_alu instid0(VALU_DEP_4) | instskip(NEXT) | instid1(VALU_DEP_4)
	v_mul_f64 v[12:13], v[21:22], 0.5
	v_mul_f64 v[21:22], v[23:24], 0.5
	s_delay_alu instid0(VALU_DEP_4) | instskip(SKIP_1) | instid1(VALU_DEP_3)
	v_mul_f64 v[2:3], v[2:3], 0.5
	s_waitcnt vmcnt(1)
	v_mul_f64 v[10:11], v[12:13], v[17:18]
	s_delay_alu instid0(VALU_DEP_2) | instskip(SKIP_1) | instid1(VALU_DEP_3)
	v_fma_f64 v[23:24], v[21:22], v[17:18], v[2:3]
	v_fma_f64 v[2:3], v[21:22], v[17:18], -v[2:3]
	v_fma_f64 v[17:18], v[0:1], 0.5, v[10:11]
	v_fma_f64 v[0:1], v[0:1], 0.5, -v[10:11]
	s_delay_alu instid0(VALU_DEP_4) | instskip(NEXT) | instid1(VALU_DEP_4)
	v_fma_f64 v[23:24], -v[15:16], v[12:13], v[23:24]
	v_fma_f64 v[2:3], -v[15:16], v[12:13], v[2:3]
	v_add_co_u32 v10, s0, 0x2000, v19
	s_delay_alu instid0(VALU_DEP_1)
	v_add_co_ci_u32_e64 v11, s0, 0, v20, s0
	global_load_b128 v[10:13], v[10:11], off offset:1664
	v_fma_f64 v[17:18], v[21:22], v[15:16], v[17:18]
	v_fma_f64 v[0:1], -v[21:22], v[15:16], v[0:1]
	v_add_nc_u32_e32 v15, 0x1000, v112
	ds_store_2addr_b64 v15, v[17:18], v[23:24] offset0:104 offset1:105
	ds_store_b128 v14, v[0:3] offset:19712
	ds_load_b128 v[0:3], v112 offset:7392
	ds_load_b128 v[15:18], v14 offset:17248
	s_waitcnt lgkmcnt(0)
	v_add_f64 v[19:20], v[0:1], -v[15:16]
	v_add_f64 v[21:22], v[2:3], v[17:18]
	v_add_f64 v[2:3], v[2:3], -v[17:18]
	v_add_f64 v[0:1], v[0:1], v[15:16]
	s_delay_alu instid0(VALU_DEP_4) | instskip(NEXT) | instid1(VALU_DEP_4)
	v_mul_f64 v[17:18], v[19:20], 0.5
	v_mul_f64 v[19:20], v[21:22], 0.5
	s_delay_alu instid0(VALU_DEP_4) | instskip(SKIP_1) | instid1(VALU_DEP_3)
	v_mul_f64 v[2:3], v[2:3], 0.5
	s_waitcnt vmcnt(1)
	v_mul_f64 v[15:16], v[17:18], v[6:7]
	s_delay_alu instid0(VALU_DEP_2) | instskip(SKIP_1) | instid1(VALU_DEP_3)
	v_fma_f64 v[21:22], v[19:20], v[6:7], v[2:3]
	v_fma_f64 v[2:3], v[19:20], v[6:7], -v[2:3]
	v_fma_f64 v[6:7], v[0:1], 0.5, v[15:16]
	v_fma_f64 v[0:1], v[0:1], 0.5, -v[15:16]
	s_delay_alu instid0(VALU_DEP_4) | instskip(NEXT) | instid1(VALU_DEP_4)
	v_fma_f64 v[15:16], -v[4:5], v[17:18], v[21:22]
	v_fma_f64 v[2:3], -v[4:5], v[17:18], v[2:3]
	s_delay_alu instid0(VALU_DEP_4) | instskip(NEXT) | instid1(VALU_DEP_4)
	v_fma_f64 v[6:7], v[19:20], v[4:5], v[6:7]
	v_fma_f64 v[0:1], -v[19:20], v[4:5], v[0:1]
	v_add_nc_u32_e32 v4, 0x1800, v112
	ds_store_2addr_b64 v4, v[6:7], v[15:16] offset0:156 offset1:157
	ds_store_b128 v14, v[0:3] offset:17248
	ds_load_b128 v[0:3], v112 offset:9856
	ds_load_b128 v[4:7], v14 offset:14784
	s_waitcnt lgkmcnt(0)
	v_add_f64 v[15:16], v[0:1], -v[4:5]
	v_add_f64 v[17:18], v[2:3], v[6:7]
	v_add_f64 v[2:3], v[2:3], -v[6:7]
	v_add_f64 v[0:1], v[0:1], v[4:5]
	s_delay_alu instid0(VALU_DEP_4) | instskip(NEXT) | instid1(VALU_DEP_4)
	v_mul_f64 v[6:7], v[15:16], 0.5
	v_mul_f64 v[15:16], v[17:18], 0.5
	s_delay_alu instid0(VALU_DEP_4) | instskip(SKIP_1) | instid1(VALU_DEP_3)
	v_mul_f64 v[2:3], v[2:3], 0.5
	s_waitcnt vmcnt(0)
	v_mul_f64 v[4:5], v[6:7], v[12:13]
	s_delay_alu instid0(VALU_DEP_2) | instskip(SKIP_1) | instid1(VALU_DEP_3)
	v_fma_f64 v[17:18], v[15:16], v[12:13], v[2:3]
	v_fma_f64 v[2:3], v[15:16], v[12:13], -v[2:3]
	v_fma_f64 v[12:13], v[0:1], 0.5, v[4:5]
	v_fma_f64 v[0:1], v[0:1], 0.5, -v[4:5]
	s_delay_alu instid0(VALU_DEP_4) | instskip(NEXT) | instid1(VALU_DEP_4)
	v_fma_f64 v[4:5], -v[10:11], v[6:7], v[17:18]
	v_fma_f64 v[2:3], -v[10:11], v[6:7], v[2:3]
	s_delay_alu instid0(VALU_DEP_4) | instskip(NEXT) | instid1(VALU_DEP_4)
	v_fma_f64 v[6:7], v[15:16], v[10:11], v[12:13]
	v_fma_f64 v[0:1], -v[15:16], v[10:11], v[0:1]
	v_add_nc_u32_e32 v10, 0x2000, v112
	ds_store_2addr_b64 v10, v[6:7], v[4:5] offset0:208 offset1:209
	ds_store_b128 v14, v[0:3] offset:14784
	s_waitcnt lgkmcnt(0)
	s_barrier
	buffer_gl0_inv
	s_and_saveexec_b32 s0, vcc_lo
	s_cbranch_execz .LBB0_24
; %bb.22:
	v_add_co_u32 v0, vcc_lo, s8, v58
	v_add_co_ci_u32_e32 v1, vcc_lo, s9, v59, vcc_lo
	s_delay_alu instid0(VALU_DEP_2) | instskip(NEXT) | instid1(VALU_DEP_2)
	v_add_co_u32 v42, vcc_lo, v0, v8
	v_add_co_ci_u32_e32 v43, vcc_lo, v1, v9, vcc_lo
	ds_load_b128 v[2:5], v112
	ds_load_b128 v[6:9], v112 offset:2464
	ds_load_b128 v[10:13], v112 offset:4928
	;; [unrolled: 1-line block ×5, first 2 shown]
	v_add_co_u32 v44, vcc_lo, 0x1000, v42
	ds_load_b128 v[26:29], v112 offset:14784
	ds_load_b128 v[30:33], v112 offset:17248
	;; [unrolled: 1-line block ×4, first 2 shown]
	v_add_co_ci_u32_e32 v45, vcc_lo, 0, v43, vcc_lo
	v_add_co_u32 v46, vcc_lo, 0x2000, v42
	v_add_co_ci_u32_e32 v47, vcc_lo, 0, v43, vcc_lo
	v_add_co_u32 v48, vcc_lo, 0x3000, v42
	v_add_co_ci_u32_e32 v49, vcc_lo, 0, v43, vcc_lo
	s_waitcnt lgkmcnt(9)
	global_store_b128 v[42:43], v[2:5], off
	s_waitcnt lgkmcnt(8)
	global_store_b128 v[42:43], v[6:9], off offset:2464
	s_waitcnt lgkmcnt(7)
	global_store_b128 v[44:45], v[10:13], off offset:832
	s_waitcnt lgkmcnt(6)
	global_store_b128 v[44:45], v[14:17], off offset:3296
	s_waitcnt lgkmcnt(5)
	global_store_b128 v[46:47], v[18:21], off offset:1664
	s_waitcnt lgkmcnt(4)
	global_store_b128 v[48:49], v[22:25], off offset:32
	v_add_co_u32 v2, vcc_lo, 0x4000, v42
	v_add_co_ci_u32_e32 v3, vcc_lo, 0, v43, vcc_lo
	v_add_co_u32 v4, vcc_lo, 0x5000, v42
	v_add_co_ci_u32_e32 v5, vcc_lo, 0, v43, vcc_lo
	v_cmp_eq_u32_e32 vcc_lo, 0x99, v56
	s_waitcnt lgkmcnt(3)
	global_store_b128 v[48:49], v[26:29], off offset:2496
	s_waitcnt lgkmcnt(2)
	global_store_b128 v[2:3], v[30:33], off offset:864
	;; [unrolled: 2-line block ×4, first 2 shown]
	s_and_b32 exec_lo, exec_lo, vcc_lo
	s_cbranch_execz .LBB0_24
; %bb.23:
	v_mov_b32_e32 v2, 0
	v_add_co_u32 v0, vcc_lo, 0x6000, v0
	v_add_co_ci_u32_e32 v1, vcc_lo, 0, v1, vcc_lo
	ds_load_b128 v[2:5], v2 offset:24640
	s_waitcnt lgkmcnt(0)
	global_store_b128 v[0:1], v[2:5], off offset:64
.LBB0_24:
	s_nop 0
	s_sendmsg sendmsg(MSG_DEALLOC_VGPRS)
	s_endpgm
	.section	.rodata,"a",@progbits
	.p2align	6, 0x0
	.amdhsa_kernel fft_rtc_fwd_len1540_factors_11_2_7_5_2_wgs_154_tpt_154_halfLds_dp_ip_CI_unitstride_sbrr_R2C_dirReg
		.amdhsa_group_segment_fixed_size 0
		.amdhsa_private_segment_fixed_size 0
		.amdhsa_kernarg_size 88
		.amdhsa_user_sgpr_count 15
		.amdhsa_user_sgpr_dispatch_ptr 0
		.amdhsa_user_sgpr_queue_ptr 0
		.amdhsa_user_sgpr_kernarg_segment_ptr 1
		.amdhsa_user_sgpr_dispatch_id 0
		.amdhsa_user_sgpr_private_segment_size 0
		.amdhsa_wavefront_size32 1
		.amdhsa_uses_dynamic_stack 0
		.amdhsa_enable_private_segment 0
		.amdhsa_system_sgpr_workgroup_id_x 1
		.amdhsa_system_sgpr_workgroup_id_y 0
		.amdhsa_system_sgpr_workgroup_id_z 0
		.amdhsa_system_sgpr_workgroup_info 0
		.amdhsa_system_vgpr_workitem_id 0
		.amdhsa_next_free_vgpr 165
		.amdhsa_next_free_sgpr 36
		.amdhsa_reserve_vcc 1
		.amdhsa_float_round_mode_32 0
		.amdhsa_float_round_mode_16_64 0
		.amdhsa_float_denorm_mode_32 3
		.amdhsa_float_denorm_mode_16_64 3
		.amdhsa_dx10_clamp 1
		.amdhsa_ieee_mode 1
		.amdhsa_fp16_overflow 0
		.amdhsa_workgroup_processor_mode 1
		.amdhsa_memory_ordered 1
		.amdhsa_forward_progress 0
		.amdhsa_shared_vgpr_count 0
		.amdhsa_exception_fp_ieee_invalid_op 0
		.amdhsa_exception_fp_denorm_src 0
		.amdhsa_exception_fp_ieee_div_zero 0
		.amdhsa_exception_fp_ieee_overflow 0
		.amdhsa_exception_fp_ieee_underflow 0
		.amdhsa_exception_fp_ieee_inexact 0
		.amdhsa_exception_int_div_zero 0
	.end_amdhsa_kernel
	.text
.Lfunc_end0:
	.size	fft_rtc_fwd_len1540_factors_11_2_7_5_2_wgs_154_tpt_154_halfLds_dp_ip_CI_unitstride_sbrr_R2C_dirReg, .Lfunc_end0-fft_rtc_fwd_len1540_factors_11_2_7_5_2_wgs_154_tpt_154_halfLds_dp_ip_CI_unitstride_sbrr_R2C_dirReg
                                        ; -- End function
	.section	.AMDGPU.csdata,"",@progbits
; Kernel info:
; codeLenInByte = 11952
; NumSgprs: 38
; NumVgprs: 165
; ScratchSize: 0
; MemoryBound: 0
; FloatMode: 240
; IeeeMode: 1
; LDSByteSize: 0 bytes/workgroup (compile time only)
; SGPRBlocks: 4
; VGPRBlocks: 20
; NumSGPRsForWavesPerEU: 38
; NumVGPRsForWavesPerEU: 165
; Occupancy: 9
; WaveLimiterHint : 1
; COMPUTE_PGM_RSRC2:SCRATCH_EN: 0
; COMPUTE_PGM_RSRC2:USER_SGPR: 15
; COMPUTE_PGM_RSRC2:TRAP_HANDLER: 0
; COMPUTE_PGM_RSRC2:TGID_X_EN: 1
; COMPUTE_PGM_RSRC2:TGID_Y_EN: 0
; COMPUTE_PGM_RSRC2:TGID_Z_EN: 0
; COMPUTE_PGM_RSRC2:TIDIG_COMP_CNT: 0
	.text
	.p2alignl 7, 3214868480
	.fill 96, 4, 3214868480
	.type	__hip_cuid_96420b6cfd13f5c0,@object ; @__hip_cuid_96420b6cfd13f5c0
	.section	.bss,"aw",@nobits
	.globl	__hip_cuid_96420b6cfd13f5c0
__hip_cuid_96420b6cfd13f5c0:
	.byte	0                               ; 0x0
	.size	__hip_cuid_96420b6cfd13f5c0, 1

	.ident	"AMD clang version 19.0.0git (https://github.com/RadeonOpenCompute/llvm-project roc-6.4.0 25133 c7fe45cf4b819c5991fe208aaa96edf142730f1d)"
	.section	".note.GNU-stack","",@progbits
	.addrsig
	.addrsig_sym __hip_cuid_96420b6cfd13f5c0
	.amdgpu_metadata
---
amdhsa.kernels:
  - .args:
      - .actual_access:  read_only
        .address_space:  global
        .offset:         0
        .size:           8
        .value_kind:     global_buffer
      - .offset:         8
        .size:           8
        .value_kind:     by_value
      - .actual_access:  read_only
        .address_space:  global
        .offset:         16
        .size:           8
        .value_kind:     global_buffer
      - .actual_access:  read_only
        .address_space:  global
        .offset:         24
        .size:           8
        .value_kind:     global_buffer
      - .offset:         32
        .size:           8
        .value_kind:     by_value
      - .actual_access:  read_only
        .address_space:  global
        .offset:         40
        .size:           8
        .value_kind:     global_buffer
      - .actual_access:  read_only
        .address_space:  global
        .offset:         48
        .size:           8
        .value_kind:     global_buffer
      - .offset:         56
        .size:           4
        .value_kind:     by_value
      - .actual_access:  read_only
        .address_space:  global
        .offset:         64
        .size:           8
        .value_kind:     global_buffer
      - .actual_access:  read_only
        .address_space:  global
        .offset:         72
        .size:           8
        .value_kind:     global_buffer
      - .address_space:  global
        .offset:         80
        .size:           8
        .value_kind:     global_buffer
    .group_segment_fixed_size: 0
    .kernarg_segment_align: 8
    .kernarg_segment_size: 88
    .language:       OpenCL C
    .language_version:
      - 2
      - 0
    .max_flat_workgroup_size: 154
    .name:           fft_rtc_fwd_len1540_factors_11_2_7_5_2_wgs_154_tpt_154_halfLds_dp_ip_CI_unitstride_sbrr_R2C_dirReg
    .private_segment_fixed_size: 0
    .sgpr_count:     38
    .sgpr_spill_count: 0
    .symbol:         fft_rtc_fwd_len1540_factors_11_2_7_5_2_wgs_154_tpt_154_halfLds_dp_ip_CI_unitstride_sbrr_R2C_dirReg.kd
    .uniform_work_group_size: 1
    .uses_dynamic_stack: false
    .vgpr_count:     165
    .vgpr_spill_count: 0
    .wavefront_size: 32
    .workgroup_processor_mode: 1
amdhsa.target:   amdgcn-amd-amdhsa--gfx1100
amdhsa.version:
  - 1
  - 2
...

	.end_amdgpu_metadata
